;; amdgpu-corpus repo=ROCm/rocFFT kind=compiled arch=gfx1030 opt=O3
	.text
	.amdgcn_target "amdgcn-amd-amdhsa--gfx1030"
	.amdhsa_code_object_version 6
	.protected	fft_rtc_back_len864_factors_3_6_16_3_wgs_54_tpt_54_halfLds_dp_op_CI_CI_unitstride_sbrr_dirReg ; -- Begin function fft_rtc_back_len864_factors_3_6_16_3_wgs_54_tpt_54_halfLds_dp_op_CI_CI_unitstride_sbrr_dirReg
	.globl	fft_rtc_back_len864_factors_3_6_16_3_wgs_54_tpt_54_halfLds_dp_op_CI_CI_unitstride_sbrr_dirReg
	.p2align	8
	.type	fft_rtc_back_len864_factors_3_6_16_3_wgs_54_tpt_54_halfLds_dp_op_CI_CI_unitstride_sbrr_dirReg,@function
fft_rtc_back_len864_factors_3_6_16_3_wgs_54_tpt_54_halfLds_dp_op_CI_CI_unitstride_sbrr_dirReg: ; @fft_rtc_back_len864_factors_3_6_16_3_wgs_54_tpt_54_halfLds_dp_op_CI_CI_unitstride_sbrr_dirReg
; %bb.0:
	s_clause 0x2
	s_load_dwordx4 s[8:11], s[4:5], 0x0
	s_load_dwordx4 s[12:15], s[4:5], 0x58
	;; [unrolled: 1-line block ×3, first 2 shown]
	v_mul_u32_u24_e32 v1, 0x4be, v0
	v_mov_b32_e32 v3, 0
	v_add_nc_u32_sdwa v5, s6, v1 dst_sel:DWORD dst_unused:UNUSED_PAD src0_sel:DWORD src1_sel:WORD_1
	v_mov_b32_e32 v1, 0
	v_mov_b32_e32 v6, v3
	v_mov_b32_e32 v2, 0
	s_waitcnt lgkmcnt(0)
	v_cmp_lt_u64_e64 s0, s[10:11], 2
	s_and_b32 vcc_lo, exec_lo, s0
	s_cbranch_vccnz .LBB0_8
; %bb.1:
	s_load_dwordx2 s[0:1], s[4:5], 0x10
	v_mov_b32_e32 v1, 0
	v_mov_b32_e32 v2, 0
	s_add_u32 s2, s18, 8
	s_addc_u32 s3, s19, 0
	s_add_u32 s6, s16, 8
	s_addc_u32 s7, s17, 0
	v_mov_b32_e32 v107, v2
	v_mov_b32_e32 v106, v1
	s_mov_b64 s[22:23], 1
	s_waitcnt lgkmcnt(0)
	s_add_u32 s20, s0, 8
	s_addc_u32 s21, s1, 0
.LBB0_2:                                ; =>This Inner Loop Header: Depth=1
	s_load_dwordx2 s[24:25], s[20:21], 0x0
                                        ; implicit-def: $vgpr108_vgpr109
	s_mov_b32 s0, exec_lo
	s_waitcnt lgkmcnt(0)
	v_or_b32_e32 v4, s25, v6
	v_cmpx_ne_u64_e32 0, v[3:4]
	s_xor_b32 s1, exec_lo, s0
	s_cbranch_execz .LBB0_4
; %bb.3:                                ;   in Loop: Header=BB0_2 Depth=1
	v_cvt_f32_u32_e32 v4, s24
	v_cvt_f32_u32_e32 v7, s25
	s_sub_u32 s0, 0, s24
	s_subb_u32 s26, 0, s25
	v_fmac_f32_e32 v4, 0x4f800000, v7
	v_rcp_f32_e32 v4, v4
	v_mul_f32_e32 v4, 0x5f7ffffc, v4
	v_mul_f32_e32 v7, 0x2f800000, v4
	v_trunc_f32_e32 v7, v7
	v_fmac_f32_e32 v4, 0xcf800000, v7
	v_cvt_u32_f32_e32 v7, v7
	v_cvt_u32_f32_e32 v4, v4
	v_mul_lo_u32 v8, s0, v7
	v_mul_hi_u32 v9, s0, v4
	v_mul_lo_u32 v10, s26, v4
	v_add_nc_u32_e32 v8, v9, v8
	v_mul_lo_u32 v9, s0, v4
	v_add_nc_u32_e32 v8, v8, v10
	v_mul_hi_u32 v10, v4, v9
	v_mul_lo_u32 v11, v4, v8
	v_mul_hi_u32 v12, v4, v8
	v_mul_hi_u32 v13, v7, v9
	v_mul_lo_u32 v9, v7, v9
	v_mul_hi_u32 v14, v7, v8
	v_mul_lo_u32 v8, v7, v8
	v_add_co_u32 v10, vcc_lo, v10, v11
	v_add_co_ci_u32_e32 v11, vcc_lo, 0, v12, vcc_lo
	v_add_co_u32 v9, vcc_lo, v10, v9
	v_add_co_ci_u32_e32 v9, vcc_lo, v11, v13, vcc_lo
	v_add_co_ci_u32_e32 v10, vcc_lo, 0, v14, vcc_lo
	v_add_co_u32 v8, vcc_lo, v9, v8
	v_add_co_ci_u32_e32 v9, vcc_lo, 0, v10, vcc_lo
	v_add_co_u32 v4, vcc_lo, v4, v8
	v_add_co_ci_u32_e32 v7, vcc_lo, v7, v9, vcc_lo
	v_mul_hi_u32 v8, s0, v4
	v_mul_lo_u32 v10, s26, v4
	v_mul_lo_u32 v9, s0, v7
	v_add_nc_u32_e32 v8, v8, v9
	v_mul_lo_u32 v9, s0, v4
	v_add_nc_u32_e32 v8, v8, v10
	v_mul_hi_u32 v10, v4, v9
	v_mul_lo_u32 v11, v4, v8
	v_mul_hi_u32 v12, v4, v8
	v_mul_hi_u32 v13, v7, v9
	v_mul_lo_u32 v9, v7, v9
	v_mul_hi_u32 v14, v7, v8
	v_mul_lo_u32 v8, v7, v8
	v_add_co_u32 v10, vcc_lo, v10, v11
	v_add_co_ci_u32_e32 v11, vcc_lo, 0, v12, vcc_lo
	v_add_co_u32 v9, vcc_lo, v10, v9
	v_add_co_ci_u32_e32 v9, vcc_lo, v11, v13, vcc_lo
	v_add_co_ci_u32_e32 v10, vcc_lo, 0, v14, vcc_lo
	v_add_co_u32 v8, vcc_lo, v9, v8
	v_add_co_ci_u32_e32 v9, vcc_lo, 0, v10, vcc_lo
	v_add_co_u32 v4, vcc_lo, v4, v8
	v_add_co_ci_u32_e32 v11, vcc_lo, v7, v9, vcc_lo
	v_mul_hi_u32 v13, v5, v4
	v_mad_u64_u32 v[9:10], null, v6, v4, 0
	v_mad_u64_u32 v[7:8], null, v5, v11, 0
	;; [unrolled: 1-line block ×3, first 2 shown]
	v_add_co_u32 v4, vcc_lo, v13, v7
	v_add_co_ci_u32_e32 v7, vcc_lo, 0, v8, vcc_lo
	v_add_co_u32 v4, vcc_lo, v4, v9
	v_add_co_ci_u32_e32 v4, vcc_lo, v7, v10, vcc_lo
	v_add_co_ci_u32_e32 v7, vcc_lo, 0, v12, vcc_lo
	v_add_co_u32 v4, vcc_lo, v4, v11
	v_add_co_ci_u32_e32 v9, vcc_lo, 0, v7, vcc_lo
	v_mul_lo_u32 v10, s25, v4
	v_mad_u64_u32 v[7:8], null, s24, v4, 0
	v_mul_lo_u32 v11, s24, v9
	v_sub_co_u32 v7, vcc_lo, v5, v7
	v_add3_u32 v8, v8, v11, v10
	v_sub_nc_u32_e32 v10, v6, v8
	v_subrev_co_ci_u32_e64 v10, s0, s25, v10, vcc_lo
	v_add_co_u32 v11, s0, v4, 2
	v_add_co_ci_u32_e64 v12, s0, 0, v9, s0
	v_sub_co_u32 v13, s0, v7, s24
	v_sub_co_ci_u32_e32 v8, vcc_lo, v6, v8, vcc_lo
	v_subrev_co_ci_u32_e64 v10, s0, 0, v10, s0
	v_cmp_le_u32_e32 vcc_lo, s24, v13
	v_cmp_eq_u32_e64 s0, s25, v8
	v_cndmask_b32_e64 v13, 0, -1, vcc_lo
	v_cmp_le_u32_e32 vcc_lo, s25, v10
	v_cndmask_b32_e64 v14, 0, -1, vcc_lo
	v_cmp_le_u32_e32 vcc_lo, s24, v7
	;; [unrolled: 2-line block ×3, first 2 shown]
	v_cndmask_b32_e64 v15, 0, -1, vcc_lo
	v_cmp_eq_u32_e32 vcc_lo, s25, v10
	v_cndmask_b32_e64 v7, v15, v7, s0
	v_cndmask_b32_e32 v10, v14, v13, vcc_lo
	v_add_co_u32 v13, vcc_lo, v4, 1
	v_add_co_ci_u32_e32 v14, vcc_lo, 0, v9, vcc_lo
	v_cmp_ne_u32_e32 vcc_lo, 0, v10
	v_cndmask_b32_e32 v8, v14, v12, vcc_lo
	v_cndmask_b32_e32 v10, v13, v11, vcc_lo
	v_cmp_ne_u32_e32 vcc_lo, 0, v7
	v_cndmask_b32_e32 v109, v9, v8, vcc_lo
	v_cndmask_b32_e32 v108, v4, v10, vcc_lo
.LBB0_4:                                ;   in Loop: Header=BB0_2 Depth=1
	s_andn2_saveexec_b32 s0, s1
	s_cbranch_execz .LBB0_6
; %bb.5:                                ;   in Loop: Header=BB0_2 Depth=1
	v_cvt_f32_u32_e32 v4, s24
	s_sub_i32 s1, 0, s24
	v_mov_b32_e32 v109, v3
	v_rcp_iflag_f32_e32 v4, v4
	v_mul_f32_e32 v4, 0x4f7ffffe, v4
	v_cvt_u32_f32_e32 v4, v4
	v_mul_lo_u32 v7, s1, v4
	v_mul_hi_u32 v7, v4, v7
	v_add_nc_u32_e32 v4, v4, v7
	v_mul_hi_u32 v4, v5, v4
	v_mul_lo_u32 v7, v4, s24
	v_add_nc_u32_e32 v8, 1, v4
	v_sub_nc_u32_e32 v7, v5, v7
	v_subrev_nc_u32_e32 v9, s24, v7
	v_cmp_le_u32_e32 vcc_lo, s24, v7
	v_cndmask_b32_e32 v7, v7, v9, vcc_lo
	v_cndmask_b32_e32 v4, v4, v8, vcc_lo
	v_cmp_le_u32_e32 vcc_lo, s24, v7
	v_add_nc_u32_e32 v8, 1, v4
	v_cndmask_b32_e32 v108, v4, v8, vcc_lo
.LBB0_6:                                ;   in Loop: Header=BB0_2 Depth=1
	s_or_b32 exec_lo, exec_lo, s0
	v_mul_lo_u32 v4, v109, s24
	v_mul_lo_u32 v9, v108, s25
	s_load_dwordx2 s[0:1], s[6:7], 0x0
	v_mad_u64_u32 v[7:8], null, v108, s24, 0
	s_load_dwordx2 s[24:25], s[2:3], 0x0
	s_add_u32 s22, s22, 1
	s_addc_u32 s23, s23, 0
	s_add_u32 s2, s2, 8
	s_addc_u32 s3, s3, 0
	s_add_u32 s6, s6, 8
	v_add3_u32 v4, v8, v9, v4
	v_sub_co_u32 v5, vcc_lo, v5, v7
	s_addc_u32 s7, s7, 0
	s_add_u32 s20, s20, 8
	v_sub_co_ci_u32_e32 v4, vcc_lo, v6, v4, vcc_lo
	s_addc_u32 s21, s21, 0
	s_waitcnt lgkmcnt(0)
	v_mul_lo_u32 v6, s0, v4
	v_mul_lo_u32 v7, s1, v5
	v_mad_u64_u32 v[1:2], null, s0, v5, v[1:2]
	v_mul_lo_u32 v4, s24, v4
	v_mul_lo_u32 v8, s25, v5
	v_mad_u64_u32 v[106:107], null, s24, v5, v[106:107]
	v_cmp_ge_u64_e64 s0, s[22:23], s[10:11]
	v_add3_u32 v2, v7, v2, v6
	v_add3_u32 v107, v8, v107, v4
	s_and_b32 vcc_lo, exec_lo, s0
	s_cbranch_vccnz .LBB0_9
; %bb.7:                                ;   in Loop: Header=BB0_2 Depth=1
	v_mov_b32_e32 v5, v108
	v_mov_b32_e32 v6, v109
	s_branch .LBB0_2
.LBB0_8:
	v_mov_b32_e32 v107, v2
	v_mov_b32_e32 v109, v6
	;; [unrolled: 1-line block ×4, first 2 shown]
.LBB0_9:
	s_load_dwordx2 s[2:3], s[4:5], 0x28
	v_mul_hi_u32 v3, 0x4bda130, v0
	s_lshl_b64 s[4:5], s[10:11], 3
                                        ; implicit-def: $vgpr118
	s_waitcnt lgkmcnt(0)
	v_cmp_gt_u64_e64 s0, s[2:3], v[108:109]
	v_cmp_le_u64_e32 vcc_lo, s[2:3], v[108:109]
	s_add_u32 s2, s18, s4
	s_addc_u32 s3, s19, s5
	s_and_saveexec_b32 s1, vcc_lo
	s_xor_b32 s1, exec_lo, s1
; %bb.10:
	v_mul_u32_u24_e32 v1, 54, v3
                                        ; implicit-def: $vgpr3
	v_sub_nc_u32_e32 v118, v0, v1
                                        ; implicit-def: $vgpr0
                                        ; implicit-def: $vgpr1_vgpr2
; %bb.11:
	s_or_saveexec_b32 s1, s1
	s_load_dwordx2 s[2:3], s[2:3], 0x0
                                        ; implicit-def: $vgpr52_vgpr53
                                        ; implicit-def: $vgpr72_vgpr73
                                        ; implicit-def: $vgpr4_vgpr5
                                        ; implicit-def: $vgpr88_vgpr89
                                        ; implicit-def: $vgpr40_vgpr41
                                        ; implicit-def: $vgpr48_vgpr49
                                        ; implicit-def: $vgpr44_vgpr45
                                        ; implicit-def: $vgpr76_vgpr77
                                        ; implicit-def: $vgpr56_vgpr57
                                        ; implicit-def: $vgpr64_vgpr65
                                        ; implicit-def: $vgpr80_vgpr81
                                        ; implicit-def: $vgpr84_vgpr85
                                        ; implicit-def: $vgpr104_vgpr105
                                        ; implicit-def: $vgpr96_vgpr97
                                        ; implicit-def: $vgpr92_vgpr93
                                        ; implicit-def: $vgpr68_vgpr69
                                        ; implicit-def: $vgpr60_vgpr61
                                        ; implicit-def: $vgpr36_vgpr37
	s_xor_b32 exec_lo, exec_lo, s1
	s_cbranch_execz .LBB0_15
; %bb.12:
	s_add_u32 s4, s16, s4
	s_addc_u32 s5, s17, s5
	v_lshlrev_b64 v[1:2], 4, v[1:2]
	s_load_dwordx2 s[4:5], s[4:5], 0x0
                                        ; implicit-def: $vgpr90_vgpr91
                                        ; implicit-def: $vgpr94_vgpr95
                                        ; implicit-def: $vgpr102_vgpr103
	s_waitcnt lgkmcnt(0)
	v_mul_lo_u32 v6, s5, v108
	v_mul_lo_u32 v7, s4, v109
	v_mad_u64_u32 v[4:5], null, s4, v108, 0
	s_mov_b32 s4, exec_lo
	v_add3_u32 v5, v5, v7, v6
	v_mul_u32_u24_e32 v6, 54, v3
	v_lshlrev_b64 v[3:4], 4, v[4:5]
	v_sub_nc_u32_e32 v118, v0, v6
	v_add_co_u32 v0, vcc_lo, s12, v3
	v_add_co_ci_u32_e32 v3, vcc_lo, s13, v4, vcc_lo
	v_lshlrev_b32_e32 v4, 4, v118
	v_add_co_u32 v0, vcc_lo, v0, v1
	v_add_co_ci_u32_e32 v1, vcc_lo, v3, v2, vcc_lo
	v_or_b32_e32 v2, 0x2400, v4
	v_add_co_u32 v8, vcc_lo, v0, v4
	v_add_co_ci_u32_e32 v9, vcc_lo, 0, v1, vcc_lo
	v_add_co_u32 v10, vcc_lo, v0, v2
	v_add_co_ci_u32_e32 v11, vcc_lo, 0, v1, vcc_lo
	;; [unrolled: 2-line block ×7, first 2 shown]
	s_clause 0x9
	global_load_dwordx4 v[34:37], v[8:9], off
	global_load_dwordx4 v[2:5], v[8:9], off offset:864
	global_load_dwordx4 v[50:53], v[0:1], off offset:512
	;; [unrolled: 1-line block ×9, first 2 shown]
	v_add_co_u32 v8, vcc_lo, 0x3000, v8
	v_add_co_ci_u32_e32 v9, vcc_lo, 0, v9, vcc_lo
	s_clause 0x4
	global_load_dwordx4 v[74:77], v[12:13], off offset:1056
	global_load_dwordx4 v[78:81], v[12:13], off offset:1920
	global_load_dwordx4 v[70:73], v[10:11], off
	global_load_dwordx4 v[86:89], v[0:1], off offset:1376
	global_load_dwordx4 v[82:85], v[8:9], off offset:384
	v_cmpx_gt_u32_e32 18, v118
; %bb.13:
	s_clause 0x2
	global_load_dwordx4 v[90:93], v[0:1], off offset:224
	global_load_dwordx4 v[94:97], v[6:7], off offset:736
	;; [unrolled: 1-line block ×3, first 2 shown]
; %bb.14:
	s_or_b32 exec_lo, exec_lo, s4
.LBB0_15:
	s_or_b32 exec_lo, exec_lo, s1
	s_waitcnt vmcnt(8)
	v_add_f64 v[0:1], v[46:47], v[42:43]
	s_waitcnt vmcnt(4)
	v_add_f64 v[6:7], v[74:75], v[54:55]
	s_waitcnt vmcnt(2)
	v_add_f64 v[8:9], v[50:51], v[70:71]
	s_waitcnt vmcnt(1)
	v_add_f64 v[10:11], v[86:87], v[38:39]
	s_waitcnt vmcnt(0)
	v_add_f64 v[12:13], v[78:79], v[82:83]
	v_add_f64 v[14:15], v[102:103], v[94:95]
	v_add_f64 v[16:17], v[48:49], -v[44:45]
	v_add_f64 v[18:19], v[76:77], -v[56:57]
	v_add_f64 v[20:21], v[50:51], v[34:35]
	v_add_f64 v[22:23], v[52:53], -v[72:73]
	v_add_f64 v[24:25], v[2:3], v[86:87]
	;; [unrolled: 2-line block ×3, first 2 shown]
	v_add_f64 v[32:33], v[94:95], v[90:91]
	v_add_f64 v[98:99], v[62:63], v[78:79]
	v_add_f64 v[30:31], v[74:75], v[66:67]
	s_mov_b32 s4, 0xe8584caa
	s_mov_b32 s5, 0xbfebb67a
	;; [unrolled: 1-line block ×4, first 2 shown]
	v_cmp_gt_u32_e32 vcc_lo, 18, v118
	v_fma_f64 v[58:59], v[0:1], -0.5, v[58:59]
	v_fma_f64 v[6:7], v[6:7], -0.5, v[66:67]
	v_fma_f64 v[8:9], v[8:9], -0.5, v[34:35]
	v_fma_f64 v[2:3], v[10:11], -0.5, v[2:3]
	v_add_f64 v[10:11], v[80:81], -v[84:85]
	v_fma_f64 v[12:13], v[12:13], -0.5, v[62:63]
	v_add_f64 v[34:35], v[96:97], -v[104:105]
	v_fma_f64 v[14:15], v[14:15], -0.5, v[90:91]
	v_add_f64 v[20:21], v[70:71], v[20:21]
	v_add_f64 v[24:25], v[24:25], v[38:39]
	v_add_f64 v[28:29], v[42:43], v[28:29]
	v_add_f64 v[90:91], v[102:103], v[32:33]
	v_add_f64 v[0:1], v[98:99], v[82:83]
	v_add_f64 v[30:31], v[54:55], v[30:31]
	v_fma_f64 v[32:33], v[16:17], s[6:7], v[58:59]
	v_fma_f64 v[98:99], v[18:19], s[6:7], v[6:7]
	;; [unrolled: 1-line block ×12, first 2 shown]
	v_mad_u32_u24 v58, v118, 24, 0
	v_add_nc_u32_e32 v10, 0x800, v58
	v_add_nc_u32_e32 v63, 0xa20, v58
	;; [unrolled: 1-line block ×5, first 2 shown]
	ds_write2_b64 v10, v[32:33], v[98:99] offset0:70 offset1:232
	ds_write2_b64 v58, v[20:21], v[100:101] offset1:1
	ds_write2_b64 v58, v[24:25], v[111:112] offset0:162 offset1:163
	ds_write2_b64 v58, v[8:9], v[22:23] offset0:2 offset1:164
	ds_write2_b64 v63, v[28:29], v[16:17] offset1:1
	ds_write2_b64 v110, v[30:31], v[6:7] offset1:1
	;; [unrolled: 1-line block ×3, first 2 shown]
	ds_write_b64 v58, v[12:13] offset:5200
	s_and_saveexec_b32 s1, vcc_lo
	s_cbranch_execz .LBB0_17
; %bb.16:
	ds_write2_b64 v59, v[90:91], v[66:67] offset1:1
	ds_write_b64 v58, v[18:19] offset:6496
.LBB0_17:
	s_or_b32 exec_lo, exec_lo, s1
	v_lshlrev_b32_e32 v6, 4, v118
	s_waitcnt lgkmcnt(0)
	s_barrier
	buffer_gl0_inv
	v_cmp_gt_u32_e64 s1, 36, v118
	v_sub_nc_u32_e32 v112, v58, v6
	v_add_nc_u32_e32 v7, 0x800, v112
	v_add_nc_u32_e32 v14, 0x1000, v112
	;; [unrolled: 1-line block ×3, first 2 shown]
	ds_read2_b64 v[8:11], v112 offset1:54
	ds_read2_b64 v[20:23], v112 offset0:144 offset1:198
	ds_read2_b64 v[24:27], v7 offset0:32 offset1:86
	;; [unrolled: 1-line block ×5, first 2 shown]
	s_and_saveexec_b32 s4, s1
	s_cbranch_execz .LBB0_19
; %bb.18:
	v_add_nc_u32_e32 v0, 0xc00, v112
	ds_read2_b64 v[16:19], v6 offset0:44 offset1:188
	ds_read2_b64 v[12:15], v0 offset0:12 offset1:156
	;; [unrolled: 1-line block ×3, first 2 shown]
	s_waitcnt lgkmcnt(2)
	v_mov_b32_e32 v67, v17
	s_waitcnt lgkmcnt(1)
	v_mov_b32_e32 v91, v15
	v_mov_b32_e32 v66, v16
	;; [unrolled: 1-line block ×3, first 2 shown]
.LBB0_19:
	s_or_b32 exec_lo, exec_lo, s4
	v_add_f64 v[6:7], v[52:53], v[72:73]
	v_add_f64 v[14:15], v[88:89], v[40:41]
	;; [unrolled: 1-line block ×7, first 2 shown]
	v_add_f64 v[50:51], v[50:51], -v[70:71]
	v_add_f64 v[70:71], v[4:5], v[88:89]
	v_add_f64 v[48:49], v[48:49], v[60:61]
	v_add_f64 v[76:77], v[76:77], v[68:69]
	v_add_f64 v[80:81], v[64:65], v[80:81]
	v_add_f64 v[88:89], v[96:97], v[92:93]
	v_add_f64 v[42:43], v[46:47], -v[42:43]
	v_add_f64 v[46:47], v[74:75], -v[54:55]
	s_mov_b32 s4, 0xe8584caa
	s_mov_b32 s5, 0x3febb67a
	;; [unrolled: 1-line block ×4, first 2 shown]
	s_waitcnt lgkmcnt(0)
	s_barrier
	buffer_gl0_inv
	v_fma_f64 v[6:7], v[6:7], -0.5, v[36:37]
	v_add_f64 v[36:37], v[86:87], -v[38:39]
	v_fma_f64 v[14:15], v[14:15], -0.5, v[4:5]
	v_fma_f64 v[16:17], v[16:17], -0.5, v[60:61]
	;; [unrolled: 1-line block ×3, first 2 shown]
	v_add_f64 v[60:61], v[78:79], -v[82:83]
	v_fma_f64 v[64:65], v[115:116], -0.5, v[64:65]
	v_add_f64 v[68:69], v[94:95], -v[102:103]
	v_fma_f64 v[74:75], v[119:120], -0.5, v[92:93]
	v_add_f64 v[52:53], v[72:73], v[52:53]
	v_add_f64 v[70:71], v[70:71], v[40:41]
	;; [unrolled: 1-line block ×6, first 2 shown]
	v_fma_f64 v[56:57], v[50:51], s[4:5], v[6:7]
	v_fma_f64 v[50:51], v[50:51], s[6:7], v[6:7]
	;; [unrolled: 1-line block ×12, first 2 shown]
	v_add_nc_u32_e32 v54, 0x800, v58
	ds_write2_b64 v58, v[52:53], v[56:57] offset1:1
	ds_write2_b64 v58, v[70:71], v[72:73] offset0:162 offset1:163
	ds_write2_b64 v58, v[50:51], v[14:15] offset0:2 offset1:164
	ds_write2_b64 v63, v[44:45], v[76:77] offset1:1
	ds_write2_b64 v110, v[48:49], v[78:79] offset1:1
	ds_write2_b64 v54, v[16:17], v[46:47] offset0:70 offset1:232
	ds_write2_b64 v62, v[4:5], v[6:7] offset1:1
	ds_write_b64 v58, v[36:37] offset:5200
	s_and_saveexec_b32 s4, vcc_lo
	s_cbranch_execz .LBB0_21
; %bb.20:
	ds_write2_b64 v59, v[38:39], v[40:41] offset1:1
	ds_write_b64 v58, v[42:43] offset:6496
.LBB0_21:
	s_or_b32 exec_lo, exec_lo, s4
	v_add_nc_u32_e32 v48, 0x800, v112
	v_add_nc_u32_e32 v49, 0x1000, v112
	;; [unrolled: 1-line block ×3, first 2 shown]
	s_waitcnt lgkmcnt(0)
	s_barrier
	buffer_gl0_inv
	ds_read2_b64 v[14:17], v112 offset1:54
	ds_read2_b64 v[52:55], v112 offset0:144 offset1:198
	ds_read2_b64 v[44:47], v48 offset0:32 offset1:86
	ds_read2_b64 v[60:63], v48 offset0:176 offset1:230
	ds_read2_b64 v[48:51], v49 offset0:64 offset1:118
	ds_read2_b64 v[56:59], v64 offset0:80 offset1:134
	s_and_saveexec_b32 s4, s1
	s_cbranch_execz .LBB0_23
; %bb.22:
	v_add_nc_u32_e32 v4, 0xc00, v112
	ds_read2_b64 v[40:43], v64 offset0:44 offset1:188
	ds_read2_b64 v[36:39], v4 offset0:12 offset1:156
	;; [unrolled: 1-line block ×3, first 2 shown]
.LBB0_23:
	s_or_b32 exec_lo, exec_lo, s4
	v_add_nc_u32_e32 v88, 54, v118
	v_and_b32_e32 v92, 0xff, v118
	v_add_nc_u32_e32 v89, 0x6c, v118
	s_mov_b32 s4, 0xe8584caa
	s_mov_b32 s5, 0xbfebb67a
	v_and_b32_e32 v64, 0xff, v88
	v_mul_lo_u16 v65, 0xab, v92
	s_mov_b32 s7, 0x3febb67a
	s_mov_b32 s6, s4
	v_mul_lo_u16 v64, 0xab, v64
	v_lshrrev_b16 v93, 9, v65
	v_mov_b32_e32 v65, 5
	v_lshrrev_b16 v94, 9, v64
	v_mul_lo_u16 v64, v93, 3
	v_mul_lo_u16 v68, v94, 3
	v_sub_nc_u16 v102, v118, v64
	v_sub_nc_u16 v103, v88, v68
	v_mul_u32_u24_sdwa v64, v102, v65 dst_sel:DWORD dst_unused:UNUSED_PAD src0_sel:BYTE_0 src1_sel:DWORD
	v_and_b32_e32 v68, 0xff, v89
	v_mul_u32_u24_sdwa v69, v103, v65 dst_sel:DWORD dst_unused:UNUSED_PAD src0_sel:BYTE_0 src1_sel:DWORD
	v_lshlrev_b32_e32 v64, 4, v64
	v_mul_lo_u16 v72, 0xab, v68
	v_lshlrev_b32_e32 v96, 4, v69
	global_load_dwordx4 v[68:71], v64, s[8:9] offset:32
	v_lshrrev_b16 v95, 9, v72
	global_load_dwordx4 v[72:75], v96, s[8:9] offset:32
	v_mul_lo_u16 v76, v95, 3
	v_sub_nc_u16 v104, v89, v76
	global_load_dwordx4 v[76:79], v64, s[8:9] offset:64
	v_mul_u32_u24_sdwa v65, v104, v65 dst_sel:DWORD dst_unused:UNUSED_PAD src0_sel:BYTE_0 src1_sel:DWORD
	v_lshlrev_b32_e32 v65, 4, v65
	s_clause 0xb
	global_load_dwordx4 v[80:83], v96, s[8:9] offset:64
	global_load_dwordx4 v[84:87], v65, s[8:9] offset:64
	;; [unrolled: 1-line block ×3, first 2 shown]
	global_load_dwordx4 v[119:122], v64, s[8:9]
	global_load_dwordx4 v[123:126], v96, s[8:9]
	;; [unrolled: 1-line block ×3, first 2 shown]
	global_load_dwordx4 v[131:134], v64, s[8:9] offset:16
	global_load_dwordx4 v[135:138], v64, s[8:9] offset:48
	;; [unrolled: 1-line block ×6, first 2 shown]
	s_waitcnt vmcnt(0) lgkmcnt(0)
	s_barrier
	buffer_gl0_inv
	v_mul_f64 v[64:65], v[60:61], v[70:71]
	v_mul_f64 v[70:71], v[98:99], v[70:71]
	;; [unrolled: 1-line block ×6, first 2 shown]
	v_fma_f64 v[98:99], v[98:99], v[68:69], v[64:65]
	v_fma_f64 v[60:61], v[60:61], v[68:69], -v[70:71]
	v_mul_f64 v[64:65], v[34:35], v[82:83]
	v_mul_f64 v[68:69], v[18:19], v[86:87]
	;; [unrolled: 1-line block ×3, first 2 shown]
	v_fma_f64 v[96:97], v[100:101], v[72:73], v[96:97]
	v_fma_f64 v[62:63], v[62:63], v[72:73], -v[74:75]
	v_mul_f64 v[72:73], v[58:59], v[82:83]
	v_mul_f64 v[74:75], v[20:21], v[121:122]
	;; [unrolled: 1-line block ×5, first 2 shown]
	v_fma_f64 v[56:57], v[56:57], v[76:77], -v[110:111]
	v_mul_f64 v[110:111], v[2:3], v[129:130]
	v_mul_f64 v[115:116], v[52:53], v[121:122]
	;; [unrolled: 1-line block ×3, first 2 shown]
	v_fma_f64 v[155:156], v[32:33], v[76:77], v[78:79]
	v_mul_f64 v[76:77], v[48:49], v[137:138]
	v_mul_f64 v[78:79], v[54:55], v[125:126]
	v_mul_f64 v[125:126], v[36:37], v[149:150]
	v_mul_f64 v[157:158], v[40:41], v[153:154]
	v_mul_f64 v[133:134], v[24:25], v[133:134]
	v_fma_f64 v[64:65], v[58:59], v[80:81], -v[64:65]
	v_fma_f64 v[58:59], v[42:43], v[84:85], -v[68:69]
	;; [unrolled: 1-line block ×3, first 2 shown]
	v_fma_f64 v[80:81], v[34:35], v[80:81], v[72:73]
	v_mul_f64 v[34:35], v[46:47], v[141:142]
	v_mul_f64 v[72:73], v[50:51], v[145:146]
	v_fma_f64 v[42:43], v[52:53], v[119:120], -v[74:75]
	v_fma_f64 v[68:69], v[90:91], v[113:114], v[82:83]
	v_add_f64 v[74:75], v[60:61], v[56:57]
	v_mul_f64 v[90:91], v[6:7], v[129:130]
	v_fma_f64 v[70:71], v[18:19], v[84:85], v[86:87]
	v_fma_f64 v[32:33], v[6:7], v[127:128], -v[110:111]
	v_fma_f64 v[52:53], v[54:55], v[123:124], -v[100:101]
	v_mul_f64 v[82:83], v[28:29], v[137:138]
	v_mul_f64 v[84:85], v[26:27], v[141:142]
	;; [unrolled: 1-line block ×5, first 2 shown]
	v_fma_f64 v[115:116], v[20:21], v[119:120], v[115:116]
	v_fma_f64 v[54:55], v[24:25], v[131:132], v[121:122]
	v_add_f64 v[100:101], v[62:63], v[64:65]
	v_fma_f64 v[28:29], v[28:29], v[135:136], v[76:77]
	v_add_f64 v[86:87], v[38:39], v[58:59]
	v_fma_f64 v[76:77], v[22:23], v[123:124], v[78:79]
	v_fma_f64 v[18:19], v[12:13], v[147:148], v[125:126]
	;; [unrolled: 1-line block ×5, first 2 shown]
	v_add_f64 v[66:67], v[98:99], v[155:156]
	v_add_f64 v[72:73], v[98:99], -v[155:156]
	v_fma_f64 v[74:75], v[74:75], -0.5, v[42:43]
	v_fma_f64 v[78:79], v[2:3], v[127:128], v[90:91]
	v_add_f64 v[121:122], v[68:69], v[70:71]
	v_add_f64 v[123:124], v[68:69], -v[70:71]
	v_add_f64 v[119:120], v[96:97], v[80:81]
	v_add_f64 v[90:91], v[96:97], -v[80:81]
	v_fma_f64 v[30:31], v[44:45], v[131:132], -v[133:134]
	v_fma_f64 v[20:21], v[48:49], v[135:136], -v[82:83]
	v_fma_f64 v[2:3], v[46:47], v[139:140], -v[84:85]
	v_fma_f64 v[12:13], v[50:51], v[143:144], -v[110:111]
	v_fma_f64 v[34:35], v[36:37], v[147:148], -v[113:114]
	v_fma_f64 v[26:27], v[40:41], v[151:152], -v[129:130]
	v_fma_f64 v[100:101], v[100:101], -0.5, v[52:53]
	v_add_f64 v[50:51], v[54:55], v[28:29]
	v_fma_f64 v[86:87], v[86:87], -0.5, v[32:33]
	v_add_f64 v[82:83], v[60:61], -v[56:57]
	v_add_f64 v[113:114], v[62:63], -v[64:65]
	v_add_f64 v[110:111], v[18:19], v[24:25]
	v_add_f64 v[98:99], v[115:116], v[98:99]
	;; [unrolled: 1-line block ×3, first 2 shown]
	v_fma_f64 v[66:67], v[66:67], -0.5, v[115:116]
	v_add_f64 v[96:97], v[76:77], v[96:97]
	v_fma_f64 v[48:49], v[72:73], s[6:7], v[74:75]
	v_fma_f64 v[46:47], v[72:73], s[4:5], v[74:75]
	v_add_f64 v[74:75], v[38:39], -v[58:59]
	v_fma_f64 v[121:122], v[121:122], -0.5, v[78:79]
	v_fma_f64 v[119:120], v[119:120], -0.5, v[76:77]
	v_add_f64 v[115:116], v[2:3], -v[12:13]
	v_fma_f64 v[44:45], v[90:91], s[6:7], v[100:101]
	v_fma_f64 v[72:73], v[90:91], s[4:5], v[100:101]
	;; [unrolled: 1-line block ×4, first 2 shown]
	v_add_f64 v[86:87], v[8:9], v[54:55]
	v_add_f64 v[90:91], v[30:31], -v[20:21]
	v_add_f64 v[100:101], v[10:11], v[6:7]
	v_add_f64 v[123:124], v[34:35], -v[26:27]
	v_fma_f64 v[125:126], v[50:51], -0.5, v[8:9]
	v_fma_f64 v[84:85], v[84:85], -0.5, v[10:11]
	;; [unrolled: 1-line block ×3, first 2 shown]
	v_fma_f64 v[76:77], v[82:83], s[4:5], v[66:67]
	v_fma_f64 v[10:11], v[82:83], s[6:7], v[66:67]
	v_mul_f64 v[82:83], v[48:49], s[4:5]
	v_fma_f64 v[66:67], v[74:75], s[4:5], v[121:122]
	v_fma_f64 v[74:75], v[74:75], s[6:7], v[121:122]
	v_mul_f64 v[127:128], v[46:47], s[4:5]
	v_fma_f64 v[8:9], v[113:114], s[4:5], v[119:120]
	v_fma_f64 v[50:51], v[113:114], s[6:7], v[119:120]
	v_add_f64 v[98:99], v[98:99], v[155:156]
	v_add_f64 v[96:97], v[96:97], v[80:81]
	v_mul_f64 v[113:114], v[44:45], s[4:5]
	v_mul_f64 v[119:120], v[72:73], s[4:5]
	v_mul_f64 v[121:122], v[40:41], s[4:5]
	v_mul_f64 v[129:130], v[36:37], s[4:5]
	v_add_f64 v[131:132], v[86:87], v[28:29]
	v_add_f64 v[100:101], v[100:101], v[22:23]
	v_fma_f64 v[133:134], v[90:91], s[4:5], v[125:126]
	v_fma_f64 v[137:138], v[115:116], s[4:5], v[84:85]
	;; [unrolled: 1-line block ×5, first 2 shown]
	v_fma_f64 v[135:136], v[76:77], 0.5, v[82:83]
	v_fma_f64 v[82:83], v[123:124], s[6:7], v[110:111]
	v_mov_b32_e32 v90, 0x90
	v_fma_f64 v[127:128], v[10:11], -0.5, v[127:128]
	v_mov_b32_e32 v91, 3
	v_mul_u32_u24_sdwa v93, v93, v90 dst_sel:DWORD dst_unused:UNUSED_PAD src0_sel:WORD_0 src1_sel:DWORD
	v_mul_u32_u24_sdwa v94, v94, v90 dst_sel:DWORD dst_unused:UNUSED_PAD src0_sel:WORD_0 src1_sel:DWORD
	v_fma_f64 v[113:114], v[8:9], 0.5, v[113:114]
	v_fma_f64 v[119:120], v[50:51], -0.5, v[119:120]
	v_fma_f64 v[84:85], v[66:67], 0.5, v[121:122]
	v_fma_f64 v[86:87], v[74:75], -0.5, v[129:130]
	v_add_f64 v[121:122], v[131:132], v[98:99]
	v_add_f64 v[123:124], v[131:132], -v[98:99]
	v_add_f64 v[129:130], v[100:101], v[96:97]
	v_add_f64 v[100:101], v[100:101], -v[96:97]
	v_lshlrev_b32_sdwa v102, v91, v102 dst_sel:DWORD dst_unused:UNUSED_PAD src0_sel:DWORD src1_sel:BYTE_0
	v_lshlrev_b32_sdwa v103, v91, v103 dst_sel:DWORD dst_unused:UNUSED_PAD src0_sel:DWORD src1_sel:BYTE_0
	v_add_f64 v[131:132], v[133:134], v[135:136]
	v_add_f64 v[133:134], v[133:134], -v[135:136]
	v_add3_u32 v110, 0, v93, v102
	v_add_f64 v[135:136], v[125:126], v[127:128]
	v_add_f64 v[125:126], v[125:126], -v[127:128]
	v_add3_u32 v105, 0, v94, v103
	v_add_f64 v[127:128], v[137:138], v[113:114]
	v_add_f64 v[113:114], v[137:138], -v[113:114]
	v_add_f64 v[96:97], v[80:81], -v[84:85]
	;; [unrolled: 1-line block ×3, first 2 shown]
	v_add_f64 v[137:138], v[115:116], v[119:120]
	v_add_f64 v[115:116], v[115:116], -v[119:120]
	ds_write2_b64 v110, v[121:122], v[131:132] offset1:3
	ds_write2_b64 v110, v[135:136], v[123:124] offset0:6 offset1:9
	ds_write2_b64 v110, v[133:134], v[125:126] offset0:12 offset1:15
	ds_write2_b64 v105, v[129:130], v[127:128] offset1:3
	ds_write2_b64 v105, v[137:138], v[100:101] offset0:6 offset1:9
	ds_write2_b64 v105, v[113:114], v[115:116] offset0:12 offset1:15
	s_and_saveexec_b32 s10, s1
	s_cbranch_execz .LBB0_25
; %bb.24:
	v_add_f64 v[0:1], v[0:1], v[18:19]
	v_add_f64 v[68:69], v[78:79], v[68:69]
	;; [unrolled: 1-line block ×7, first 2 shown]
	v_add_f64 v[0:1], v[0:1], -v[68:69]
	v_mul_u32_u24_sdwa v68, v95, v90 dst_sel:DWORD dst_unused:UNUSED_PAD src0_sel:WORD_0 src1_sel:DWORD
	v_lshlrev_b32_sdwa v69, v91, v104 dst_sel:DWORD dst_unused:UNUSED_PAD src0_sel:DWORD src1_sel:BYTE_0
	v_add3_u32 v68, 0, v68, v69
	ds_write2_b64 v68, v[80:81], v[78:79] offset1:3
	ds_write2_b64 v68, v[70:71], v[0:1] offset0:6 offset1:9
	ds_write2_b64 v68, v[96:97], v[98:99] offset0:12 offset1:15
.LBB0_25:
	s_or_b32 exec_lo, exec_lo, s10
	v_add_f64 v[0:1], v[30:31], v[20:21]
	v_add_f64 v[70:71], v[34:35], v[26:27]
	;; [unrolled: 1-line block ×4, first 2 shown]
	v_add_f64 v[28:29], v[54:55], -v[28:29]
	v_add_f64 v[42:43], v[42:43], v[60:61]
	v_mul_f64 v[48:49], v[48:49], 0.5
	v_add_f64 v[54:55], v[16:17], v[2:3]
	v_add_f64 v[52:53], v[52:53], v[62:63]
	v_mul_f64 v[46:47], v[46:47], -0.5
	v_add_f64 v[6:7], v[6:7], -v[22:23]
	v_mul_f64 v[22:23], v[44:45], 0.5
	v_mul_f64 v[44:45], v[72:73], -0.5
	v_add_f64 v[18:19], v[18:19], -v[24:25]
	v_mul_f64 v[24:25], v[40:41], 0.5
	v_mul_f64 v[40:41], v[36:37], -0.5
	v_lshl_add_u32 v90, v118, 3, 0
	v_add_nc_u32_e32 v91, 0x800, v112
	v_add_nc_u32_e32 v93, 0x1000, v112
	;; [unrolled: 1-line block ×3, first 2 shown]
	s_waitcnt lgkmcnt(0)
	s_barrier
	v_fma_f64 v[14:15], v[0:1], -0.5, v[14:15]
	v_fma_f64 v[60:61], v[70:71], -0.5, v[4:5]
	;; [unrolled: 1-line block ×3, first 2 shown]
	v_add_f64 v[20:21], v[30:31], v[20:21]
	buffer_gl0_inv
	v_add_f64 v[56:57], v[42:43], v[56:57]
	v_fma_f64 v[62:63], v[76:77], s[6:7], v[48:49]
	v_add_f64 v[54:55], v[54:55], v[12:13]
	v_add_f64 v[52:53], v[52:53], v[64:65]
	v_fma_f64 v[64:65], v[10:11], s[6:7], v[46:47]
	ds_read2_b64 v[0:3], v112 offset1:54
	v_fma_f64 v[70:71], v[8:9], s[6:7], v[22:23]
	v_fma_f64 v[72:73], v[50:51], s[6:7], v[44:45]
	v_add_nc_u32_e32 v50, 0x400, v90
	v_fma_f64 v[36:37], v[66:67], s[6:7], v[24:25]
	v_fma_f64 v[44:45], v[74:75], s[6:7], v[40:41]
	ds_read2_b64 v[40:43], v90 offset0:108 offset1:162
	v_fma_f64 v[68:69], v[28:29], s[6:7], v[14:15]
	v_fma_f64 v[46:47], v[18:19], s[6:7], v[60:61]
	;; [unrolled: 1-line block ×6, first 2 shown]
	ds_read2_b64 v[6:9], v91 offset0:68 offset1:122
	ds_read2_b64 v[28:31], v91 offset0:176 offset1:230
	;; [unrolled: 1-line block ×4, first 2 shown]
	v_add_f64 v[60:61], v[20:21], v[56:57]
	v_add_f64 v[66:67], v[54:55], v[52:53]
	v_add_f64 v[51:52], v[54:55], -v[52:53]
	v_add_f64 v[56:57], v[20:21], -v[56:57]
	v_add_f64 v[53:54], v[68:69], v[62:63]
	v_add_f64 v[100:101], v[46:47], -v[36:37]
	v_add_f64 v[102:103], v[48:49], -v[44:45]
	;; [unrolled: 3-line block ×3, first 2 shown]
	v_add_f64 v[78:79], v[16:17], v[72:73]
	v_add_f64 v[72:73], v[16:17], -v[72:73]
	ds_read2_b64 v[14:17], v94 offset0:116 offset1:170
	ds_read2_b64 v[18:21], v50 offset0:88 offset1:142
	v_add_f64 v[68:69], v[76:77], v[70:71]
	v_add_f64 v[70:71], v[76:77], -v[70:71]
	s_waitcnt lgkmcnt(0)
	s_barrier
	buffer_gl0_inv
	ds_write2_b64 v110, v[60:61], v[53:54] offset1:3
	ds_write2_b64 v110, v[74:75], v[56:57] offset0:6 offset1:9
	ds_write2_b64 v110, v[62:63], v[64:65] offset0:12 offset1:15
	ds_write2_b64 v105, v[66:67], v[68:69] offset1:3
	ds_write2_b64 v105, v[78:79], v[51:52] offset0:6 offset1:9
	ds_write2_b64 v105, v[70:71], v[72:73] offset0:12 offset1:15
	s_and_saveexec_b32 s4, s1
	s_cbranch_execz .LBB0_27
; %bb.26:
	v_add_f64 v[4:5], v[4:5], v[34:35]
	v_add_f64 v[32:33], v[32:33], v[38:39]
	;; [unrolled: 1-line block ×7, first 2 shown]
	v_add_f64 v[4:5], v[4:5], -v[26:27]
	v_mov_b32_e32 v26, 0x90
	v_mov_b32_e32 v27, 3
	v_mul_u32_u24_sdwa v26, v95, v26 dst_sel:DWORD dst_unused:UNUSED_PAD src0_sel:WORD_0 src1_sel:DWORD
	v_lshlrev_b32_sdwa v27, v27, v104 dst_sel:DWORD dst_unused:UNUSED_PAD src0_sel:DWORD src1_sel:BYTE_0
	v_add3_u32 v26, 0, v26, v27
	ds_write2_b64 v26, v[36:37], v[32:33] offset1:3
	ds_write2_b64 v26, v[34:35], v[4:5] offset0:6 offset1:9
	ds_write2_b64 v26, v[100:101], v[102:103] offset0:12 offset1:15
.LBB0_27:
	s_or_b32 exec_lo, exec_lo, s4
	v_mul_lo_u16 v4, v92, 57
	v_mov_b32_e32 v26, 15
	s_waitcnt lgkmcnt(0)
	s_barrier
	buffer_gl0_inv
	v_lshrrev_b16 v4, 10, v4
	s_mov_b32 s12, 0x667f3bcd
	s_mov_b32 s13, 0x3fe6a09e
	;; [unrolled: 1-line block ×4, first 2 shown]
	v_mul_lo_u16 v5, v4, 18
	s_mov_b32 s4, 0xcf328d46
	s_mov_b32 s5, 0xbfed906b
	;; [unrolled: 1-line block ×4, first 2 shown]
	v_sub_nc_u16 v5, v118, v5
	s_mov_b32 s6, 0xa6aea964
	s_mov_b32 s7, 0x3fd87de2
	;; [unrolled: 1-line block ×4, first 2 shown]
	v_mul_u32_u24_sdwa v26, v5, v26 dst_sel:DWORD dst_unused:UNUSED_PAD src0_sel:BYTE_0 src1_sel:DWORD
	v_add_nc_u32_e32 v95, 0xc00, v112
	v_lshlrev_b32_e32 v26, 4, v26
	s_clause 0xe
	global_load_dwordx4 v[51:54], v26, s[8:9] offset:256
	global_load_dwordx4 v[55:58], v26, s[8:9] offset:272
	;; [unrolled: 1-line block ×15, first 2 shown]
	ds_read2_b64 v[135:138], v90 offset0:108 offset1:162
	ds_read2_b64 v[32:35], v112 offset1:54
	ds_read2_b64 v[139:142], v93 offset0:28 offset1:82
	ds_read2_b64 v[143:146], v50 offset0:88 offset1:142
	;; [unrolled: 1-line block ×6, first 2 shown]
	s_waitcnt vmcnt(0) lgkmcnt(0)
	s_barrier
	buffer_gl0_inv
	v_mul_f64 v[26:27], v[135:136], v[53:54]
	v_mul_f64 v[48:49], v[40:41], v[53:54]
	;; [unrolled: 1-line block ×18, first 2 shown]
	v_fma_f64 v[26:27], v[40:41], v[51:52], v[26:27]
	v_fma_f64 v[48:49], v[135:136], v[51:52], -v[48:49]
	v_mul_f64 v[50:51], v[10:11], v[115:116]
	v_mul_f64 v[135:136], v[12:13], v[121:122]
	v_fma_f64 v[52:53], v[42:43], v[55:56], v[53:54]
	v_mul_f64 v[42:43], v[14:15], v[125:126]
	v_fma_f64 v[54:55], v[137:138], v[55:56], -v[57:58]
	v_mul_f64 v[56:57], v[143:144], v[61:62]
	v_mul_f64 v[61:62], v[44:45], v[38:39]
	;; [unrolled: 1-line block ×3, first 2 shown]
	v_fma_f64 v[40:41], v[143:144], v[59:60], -v[104:105]
	v_fma_f64 v[104:105], v[145:146], v[63:64], -v[110:111]
	v_mul_f64 v[110:111], v[151:152], v[115:116]
	v_fma_f64 v[145:146], v[24:25], v[83:84], v[167:168]
	v_mul_f64 v[24:25], v[24:25], v[85:86]
	v_mul_f64 v[85:86], v[155:156], v[125:126]
	;; [unrolled: 1-line block ×4, first 2 shown]
	v_fma_f64 v[115:116], v[147:148], v[67:68], -v[159:160]
	v_fma_f64 v[143:144], v[149:150], v[71:72], -v[161:162]
	v_fma_f64 v[22:23], v[22:23], v[79:80], v[165:166]
	v_fma_f64 v[2:3], v[2:3], v[75:76], v[163:164]
	v_fma_f64 v[75:76], v[34:35], v[75:76], -v[77:78]
	v_fma_f64 v[6:7], v[6:7], v[67:68], v[69:70]
	v_fma_f64 v[50:51], v[151:152], v[113:114], -v[50:51]
	v_fma_f64 v[125:126], v[153:154], v[119:120], -v[135:136]
	;; [unrolled: 1-line block ×4, first 2 shown]
	v_fma_f64 v[20:21], v[20:21], v[63:64], v[65:66]
	v_fma_f64 v[18:19], v[18:19], v[59:60], v[56:57]
	;; [unrolled: 1-line block ×4, first 2 shown]
	v_fma_f64 v[56:57], v[139:140], v[79:80], -v[81:82]
	v_fma_f64 v[8:9], v[8:9], v[71:72], v[73:74]
	v_fma_f64 v[10:11], v[10:11], v[113:114], v[110:111]
	;; [unrolled: 1-line block ×3, first 2 shown]
	v_fma_f64 v[24:25], v[141:142], v[83:84], -v[24:25]
	v_fma_f64 v[14:15], v[14:15], v[123:124], v[85:86]
	v_fma_f64 v[12:13], v[12:13], v[119:120], v[121:122]
	v_fma_f64 v[46:47], v[46:47], v[131:132], -v[133:134]
	v_add_f64 v[64:65], v[52:53], -v[145:146]
	v_add_f64 v[22:23], v[26:27], -v[22:23]
	;; [unrolled: 1-line block ×15, first 2 shown]
	v_fma_f64 v[26:27], v[26:27], 2.0, -v[22:23]
	v_add_f64 v[77:78], v[64:65], v[66:67]
	v_add_f64 v[72:73], v[22:23], v[50:51]
	v_fma_f64 v[46:47], v[115:116], 2.0, -v[50:51]
	v_fma_f64 v[50:51], v[52:53], 2.0, -v[64:65]
	v_add_f64 v[68:69], v[58:59], v[30:31]
	v_fma_f64 v[0:1], v[0:1], 2.0, -v[58:59]
	v_add_f64 v[70:71], v[60:61], v[62:63]
	v_fma_f64 v[2:3], v[2:3], 2.0, -v[60:61]
	v_fma_f64 v[18:19], v[18:19], 2.0, -v[34:35]
	;; [unrolled: 1-line block ×6, first 2 shown]
	v_add_f64 v[14:15], v[10:11], -v[14:15]
	v_add_f64 v[12:13], v[56:57], -v[12:13]
	v_fma_f64 v[52:53], v[143:144], 2.0, -v[66:67]
	v_fma_f64 v[8:9], v[8:9], 2.0, -v[16:17]
	v_add_f64 v[16:17], v[24:25], -v[16:17]
	v_fma_f64 v[64:65], v[64:65], 2.0, -v[77:78]
	v_fma_f64 v[22:23], v[22:23], 2.0, -v[72:73]
	;; [unrolled: 1-line block ×6, first 2 shown]
	v_add_f64 v[18:19], v[0:1], -v[18:19]
	v_add_f64 v[46:47], v[42:43], -v[46:47]
	;; [unrolled: 1-line block ×3, first 2 shown]
	v_fma_f64 v[6:7], v[10:11], 2.0, -v[14:15]
	v_add_f64 v[10:11], v[2:3], -v[20:21]
	v_fma_f64 v[20:21], v[56:57], 2.0, -v[12:13]
	v_fma_f64 v[56:57], v[72:73], s[12:13], v[68:69]
	v_add_f64 v[62:63], v[54:55], -v[52:53]
	v_fma_f64 v[52:53], v[77:78], s[12:13], v[70:71]
	v_add_f64 v[8:9], v[50:51], -v[8:9]
	v_fma_f64 v[24:25], v[24:25], 2.0, -v[16:17]
	v_fma_f64 v[85:86], v[16:17], s[12:13], v[12:13]
	v_fma_f64 v[74:75], v[22:23], s[18:19], v[66:67]
	;; [unrolled: 1-line block ×3, first 2 shown]
	v_add_f64 v[83:84], v[58:59], -v[60:61]
	v_fma_f64 v[0:1], v[0:1], 2.0, -v[18:19]
	v_add_f64 v[110:111], v[18:19], v[46:47]
	v_fma_f64 v[26:27], v[26:27], 2.0, -v[48:49]
	v_fma_f64 v[2:3], v[2:3], 2.0, -v[10:11]
	v_fma_f64 v[113:114], v[14:15], s[12:13], v[56:57]
	v_add_f64 v[115:116], v[10:11], v[62:63]
	v_fma_f64 v[52:53], v[16:17], s[12:13], v[52:53]
	v_fma_f64 v[56:57], v[50:51], 2.0, -v[8:9]
	v_fma_f64 v[16:17], v[24:25], s[18:19], v[20:21]
	v_fma_f64 v[74:75], v[6:7], s[12:13], v[74:75]
	;; [unrolled: 1-line block ×3, first 2 shown]
	v_fma_f64 v[24:25], v[54:55], 2.0, -v[62:63]
	v_fma_f64 v[62:63], v[77:78], s[18:19], v[85:86]
	v_fma_f64 v[60:61], v[58:59], 2.0, -v[83:84]
	v_add_f64 v[8:9], v[83:84], -v[8:9]
	v_fma_f64 v[18:19], v[18:19], 2.0, -v[110:111]
	v_add_f64 v[26:27], v[0:1], -v[26:27]
	v_mul_f64 v[86:87], v[6:7], s[12:13]
	v_fma_f64 v[76:77], v[68:69], 2.0, -v[113:114]
	v_fma_f64 v[10:11], v[10:11], 2.0, -v[115:116]
	;; [unrolled: 1-line block ×3, first 2 shown]
	v_add_f64 v[54:55], v[2:3], -v[56:57]
	v_fma_f64 v[64:65], v[64:65], s[18:19], v[16:17]
	v_fma_f64 v[16:17], v[66:67], 2.0, -v[74:75]
	v_fma_f64 v[56:57], v[79:80], 2.0, -v[50:51]
	v_fma_f64 v[78:79], v[52:53], s[16:17], v[113:114]
	v_fma_f64 v[68:69], v[12:13], 2.0, -v[62:63]
	v_fma_f64 v[12:13], v[115:116], s[12:13], v[110:111]
	v_add_f64 v[66:67], v[60:61], -v[24:25]
	v_fma_f64 v[24:25], v[83:84], 2.0, -v[8:9]
	v_fma_f64 v[84:85], v[50:51], s[6:7], v[74:75]
	v_fma_f64 v[0:1], v[0:1], 2.0, -v[26:27]
	v_fma_f64 v[80:81], v[10:11], s[18:19], v[18:19]
	v_fma_f64 v[82:83], v[58:59], s[10:11], v[76:77]
	v_fma_f64 v[2:3], v[2:3], 2.0, -v[54:55]
	v_fma_f64 v[70:71], v[20:21], 2.0, -v[64:65]
	v_fma_f64 v[20:21], v[56:57], s[4:5], v[16:17]
	v_fma_f64 v[104:105], v[62:63], s[6:7], v[78:79]
	v_mov_b32_e32 v78, 0x120
	v_fma_f64 v[12:13], v[8:9], s[12:13], v[12:13]
	v_add_f64 v[119:120], v[26:27], v[66:67]
	v_fma_f64 v[125:126], v[64:65], s[16:17], v[84:85]
	v_mul_u32_u24_sdwa v4, v4, v78 dst_sel:DWORD dst_unused:UNUSED_PAD src0_sel:WORD_0 src1_sel:DWORD
	v_mul_f64 v[84:85], v[14:15], s[12:13]
	v_fma_f64 v[121:122], v[24:25], s[12:13], v[80:81]
	v_fma_f64 v[123:124], v[68:69], s[16:17], v[82:83]
	v_add_f64 v[2:3], v[0:1], -v[2:3]
	v_or_b32_sdwa v78, v4, v5 dst_sel:DWORD dst_unused:UNUSED_PAD src0_sel:DWORD src1_sel:BYTE_0
	v_mul_f64 v[82:83], v[72:73], s[12:13]
	v_mul_f64 v[80:81], v[22:23], s[12:13]
	;; [unrolled: 1-line block ×3, first 2 shown]
	v_lshl_add_u32 v92, v78, 3, 0
	v_mul_f64 v[78:79], v[8:9], s[12:13]
	v_fma_f64 v[20:21], v[70:71], s[6:7], v[20:21]
	v_add_nc_u32_e32 v117, 0x400, v92
	v_fma_f64 v[4:5], v[110:111], 2.0, -v[12:13]
	v_fma_f64 v[110:111], v[113:114], 2.0, -v[104:105]
	v_fma_f64 v[26:27], v[26:27], 2.0, -v[119:120]
	v_fma_f64 v[127:128], v[74:75], 2.0, -v[125:126]
	v_mul_f64 v[74:75], v[115:116], s[12:13]
	v_fma_f64 v[18:19], v[18:19], 2.0, -v[121:122]
	v_fma_f64 v[113:114], v[76:77], 2.0, -v[123:124]
	;; [unrolled: 1-line block ×3, first 2 shown]
	v_mul_f64 v[76:77], v[24:25], s[12:13]
	v_fma_f64 v[16:17], v[16:17], 2.0, -v[20:21]
	ds_write2_b64 v117, v[12:13], v[104:105] offset0:124 offset1:142
	ds_write2_b64 v92, v[4:5], v[110:111] offset0:108 offset1:126
	ds_write2_b64 v92, v[121:122], v[123:124] offset0:180 offset1:198
	ds_write2_b64 v92, v[119:120], v[125:126] offset0:216 offset1:234
	ds_write2_b64 v92, v[18:19], v[113:114] offset0:36 offset1:54
	ds_write2_b64 v92, v[26:27], v[127:128] offset0:72 offset1:90
	ds_write2_b64 v92, v[2:3], v[20:21] offset0:144 offset1:162
	ds_write2_b64 v92, v[0:1], v[16:17] offset1:18
	s_waitcnt lgkmcnt(0)
	s_barrier
	buffer_gl0_inv
	ds_read2_b64 v[4:7], v112 offset1:54
	ds_read2_b64 v[8:11], v91 offset0:32 offset1:86
	ds_read2_b64 v[20:23], v95 offset0:120 offset1:192
	;; [unrolled: 1-line block ×6, first 2 shown]
	ds_read_b64 v[114:115], v90 offset:1728
	s_and_saveexec_b32 s1, vcc_lo
	s_cbranch_execz .LBB0_29
; %bb.28:
	ds_read_b64 v[96:97], v112 offset:4464
	ds_read_b64 v[104:105], v90 offset:2160
	ds_read_b64 v[98:99], v112 offset:6768
.LBB0_29:
	s_or_b32 exec_lo, exec_lo, s1
	v_mul_f64 v[28:29], v[28:29], v[38:39]
	v_fma_f64 v[30:31], v[40:41], 2.0, -v[30:31]
	v_fma_f64 v[42:43], v[42:43], 2.0, -v[46:47]
	s_waitcnt lgkmcnt(0)
	s_barrier
	buffer_gl0_inv
	v_fma_f64 v[28:29], v[44:45], v[36:37], -v[28:29]
	v_add_f64 v[28:29], v[32:33], -v[28:29]
	v_add_f64 v[34:35], v[28:29], -v[34:35]
	v_fma_f64 v[32:33], v[32:33], 2.0, -v[28:29]
	v_fma_f64 v[28:29], v[28:29], 2.0, -v[34:35]
	v_add_f64 v[30:31], v[32:33], -v[30:31]
	v_add_f64 v[36:37], v[34:35], v[84:85]
	v_add_f64 v[38:39], v[28:29], -v[86:87]
	v_add_f64 v[40:41], v[30:31], -v[48:49]
	;; [unrolled: 1-line block ×3, first 2 shown]
	v_fma_f64 v[32:33], v[32:33], 2.0, -v[30:31]
	v_fma_f64 v[48:49], v[60:61], 2.0, -v[66:67]
	v_add_f64 v[38:39], v[38:39], -v[80:81]
	v_fma_f64 v[30:31], v[30:31], 2.0, -v[40:41]
	v_fma_f64 v[34:35], v[34:35], 2.0, -v[36:37]
	v_add_f64 v[42:43], v[32:33], -v[42:43]
	v_add_f64 v[44:45], v[40:41], v[78:79]
	v_fma_f64 v[46:47], v[62:63], s[16:17], v[36:37]
	v_fma_f64 v[28:29], v[28:29], 2.0, -v[38:39]
	v_add_f64 v[60:61], v[30:31], -v[76:77]
	v_fma_f64 v[62:63], v[68:69], s[10:11], v[34:35]
	v_fma_f64 v[64:65], v[64:65], s[6:7], v[38:39]
	v_fma_f64 v[32:33], v[32:33], 2.0, -v[42:43]
	v_add_f64 v[44:45], v[44:45], -v[74:75]
	v_fma_f64 v[110:111], v[52:53], s[10:11], v[46:47]
	v_add_f64 v[46:47], v[42:43], -v[54:55]
	v_fma_f64 v[66:67], v[70:71], s[4:5], v[28:29]
	;; [unrolled: 2-line block ×3, first 2 shown]
	v_fma_f64 v[50:51], v[50:51], s[4:5], v[64:65]
	v_add_f64 v[48:49], v[32:33], -v[48:49]
	v_fma_f64 v[40:41], v[40:41], 2.0, -v[44:45]
	v_fma_f64 v[36:37], v[36:37], 2.0, -v[110:111]
	;; [unrolled: 1-line block ×3, first 2 shown]
	v_add_nc_u32_e32 v58, 0x400, v92
	v_add_nc_u32_e32 v59, 0x800, v112
	;; [unrolled: 1-line block ×4, first 2 shown]
	v_fma_f64 v[56:57], v[56:57], s[10:11], v[66:67]
	v_fma_f64 v[30:31], v[30:31], 2.0, -v[52:53]
	v_fma_f64 v[34:35], v[34:35], 2.0, -v[54:55]
	;; [unrolled: 1-line block ×5, first 2 shown]
	ds_write2_b64 v58, v[44:45], v[110:111] offset0:124 offset1:142
	ds_write2_b64 v92, v[40:41], v[36:37] offset0:108 offset1:126
	;; [unrolled: 1-line block ×7, first 2 shown]
	ds_write2_b64 v92, v[32:33], v[28:29] offset1:18
	s_waitcnt lgkmcnt(0)
	s_barrier
	buffer_gl0_inv
	ds_read2_b64 v[28:31], v112 offset1:54
	ds_read2_b64 v[36:39], v59 offset0:32 offset1:86
	ds_read2_b64 v[48:51], v95 offset0:120 offset1:192
	;; [unrolled: 1-line block ×6, first 2 shown]
	ds_read_b64 v[116:117], v90 offset:1728
	s_and_saveexec_b32 s1, vcc_lo
	s_cbranch_execz .LBB0_31
; %bb.30:
	ds_read_b64 v[100:101], v112 offset:4464
	ds_read_b64 v[110:111], v90 offset:2160
	;; [unrolled: 1-line block ×3, first 2 shown]
.LBB0_31:
	s_or_b32 exec_lo, exec_lo, s1
	s_and_saveexec_b32 s1, s0
	s_cbranch_execz .LBB0_34
; %bb.32:
	v_lshlrev_b32_e32 v56, 1, v118
	v_mov_b32_e32 v113, 0
	v_mul_hi_u32 v124, 0x38e38e39, v118
	v_add_nc_u32_e32 v125, 54, v118
	v_mul_lo_u32 v123, s2, v109
	v_add_nc_u32_e32 v112, 0x1b0, v56
	v_mov_b32_e32 v57, v113
	v_lshlrev_b64 v[119:120], 4, v[106:107]
	v_mul_hi_u32 v129, 0x38e38e39, v125
	v_add_nc_u32_e32 v126, 0x6c, v118
	v_lshlrev_b64 v[58:59], 4, v[112:113]
	v_lshlrev_b64 v[60:61], 4, v[56:57]
	v_add_nc_u32_e32 v112, 0x144, v56
	v_lshrrev_b32_e32 v107, 6, v124
	v_add_nc_u32_e32 v127, 0xa2, v118
	v_add_nc_u32_e32 v128, 0xd8, v118
	v_add_co_u32 v62, s0, s8, v58
	v_add_co_ci_u32_e64 v63, s0, s9, v59, s0
	v_add_co_u32 v66, s0, s8, v60
	v_add_co_ci_u32_e64 v67, s0, s9, v61, s0
	;; [unrolled: 2-line block ×3, first 2 shown]
	v_add_co_u32 v64, s0, 0x11d0, v66
	v_lshlrev_b64 v[58:59], 4, v[112:113]
	v_add_co_ci_u32_e64 v65, s0, 0, v67, s0
	v_add_co_u32 v60, s0, 0x11d0, v62
	v_add_co_ci_u32_e64 v61, s0, 0, v63, s0
	v_add_co_u32 v72, s0, s8, v58
	v_add_co_ci_u32_e64 v73, s0, s9, v59, s0
	v_lshlrev_b32_e32 v112, 1, v89
	v_add_co_u32 v68, s0, 0x11d0, v72
	v_add_co_ci_u32_e64 v69, s0, 0, v73, s0
	v_lshlrev_b64 v[70:71], 4, v[112:113]
	v_add_co_u32 v66, s0, 0x1000, v66
	v_add_co_ci_u32_e64 v67, s0, 0, v67, s0
	v_lshlrev_b32_e32 v112, 1, v88
	v_add_co_u32 v76, s0, 0x1000, v72
	v_add_co_ci_u32_e64 v77, s0, 0, v73, s0
	v_add_co_u32 v84, s0, s8, v70
	v_lshlrev_b64 v[80:81], 4, v[112:113]
	v_add_co_ci_u32_e64 v85, s0, s9, v71, s0
	v_add_co_u32 v82, s0, 0x1000, v84
	s_clause 0x1
	global_load_dwordx4 v[56:59], v[56:57], off offset:464
	global_load_dwordx4 v[60:63], v[60:61], off offset:16
	v_add_co_ci_u32_e64 v83, s0, 0, v85, s0
	v_add_co_u32 v86, s0, s8, v80
	v_add_co_ci_u32_e64 v87, s0, s9, v81, s0
	v_add_co_u32 v80, s0, 0x11d0, v84
	v_add_co_ci_u32_e64 v81, s0, 0, v85, s0
	v_add_co_u32 v84, s0, 0x1000, v86
	v_add_co_ci_u32_e64 v85, s0, 0, v87, s0
	v_add_co_u32 v88, s0, 0x11d0, v86
	s_clause 0x1
	global_load_dwordx4 v[72:75], v[64:65], off offset:16
	global_load_dwordx4 v[64:67], v[66:67], off offset:464
	v_add_co_ci_u32_e64 v89, s0, 0, v87, s0
	s_clause 0x5
	global_load_dwordx4 v[68:71], v[68:69], off offset:16
	global_load_dwordx4 v[76:79], v[76:77], off offset:464
	;; [unrolled: 1-line block ×6, first 2 shown]
	v_mul_lo_u32 v112, s3, v108
	v_mad_u64_u32 v[108:109], null, s2, v108, 0
	v_lshrrev_b32_e32 v129, 6, v129
	v_mul_hi_u32 v130, 0x38e38e39, v126
	v_mul_hi_u32 v131, 0x38e38e39, v127
	;; [unrolled: 1-line block ×3, first 2 shown]
	v_mov_b32_e32 v121, v113
	v_mov_b32_e32 v122, v113
	v_add3_u32 v109, v109, v123, v112
	v_mul_u32_u24_e32 v112, 0x120, v107
	v_mov_b32_e32 v123, v113
	v_lshrrev_b32_e32 v135, 6, v130
	v_lshrrev_b32_e32 v141, 6, v131
	v_lshlrev_b64 v[107:108], 4, v[108:109]
	v_sub_nc_u32_e32 v109, v118, v112
	v_mul_u32_u24_e32 v112, 0x120, v129
	v_lshrrev_b32_e32 v145, 6, v132
	v_mul_u32_u24_e32 v130, 0x120, v135
	v_mul_u32_u24_e32 v131, 0x120, v141
	v_add_co_u32 v107, s1, s14, v107
	v_sub_nc_u32_e32 v112, v125, v112
	v_add_co_ci_u32_e64 v133, s1, s15, v108, s1
	v_lshlrev_b32_e32 v125, 4, v109
	v_add_co_u32 v108, s1, v107, v119
	v_mul_u32_u24_e32 v132, 0x120, v145
	v_mad_u32_u24 v112, 0x360, v129, v112
	v_add_co_ci_u32_e64 v109, s1, v133, v120, s1
	v_add_co_u32 v125, s1, v108, v125
	v_sub_nc_u32_e32 v136, v126, v130
	v_sub_nc_u32_e32 v142, v127, v131
	;; [unrolled: 1-line block ×3, first 2 shown]
	v_lshlrev_b64 v[127:128], 4, v[112:113]
	v_add_nc_u32_e32 v120, 0x120, v112
	v_add_nc_u32_e32 v112, 0x240, v112
	v_add_co_ci_u32_e64 v126, s1, 0, v109, s1
	v_add_co_u32 v129, s1, 0x1000, v125
	v_lshlrev_b64 v[133:134], 4, v[112:113]
	v_mad_u32_u24 v112, 0x360, v135, v136
	v_add_co_ci_u32_e64 v130, s1, 0, v126, s1
	v_add_co_u32 v131, s1, 0x2000, v125
	v_lshlrev_b64 v[119:120], 4, v[120:121]
	v_add_co_ci_u32_e64 v132, s1, 0, v126, s1
	v_add_co_u32 v127, s1, v108, v127
	v_lshlrev_b64 v[135:136], 4, v[112:113]
	v_add_nc_u32_e32 v121, 0x120, v112
	v_add_nc_u32_e32 v112, 0x240, v112
	v_add_co_ci_u32_e64 v128, s1, v109, v128, s1
	v_add_co_u32 v119, s1, v108, v119
	v_add_co_ci_u32_e64 v120, s1, v109, v120, s1
	v_lshlrev_b64 v[139:140], 4, v[112:113]
	v_mad_u32_u24 v112, 0x360, v141, v142
	v_add_co_u32 v133, s1, v108, v133
	v_lshlrev_b64 v[137:138], 4, v[121:122]
	v_add_co_ci_u32_e64 v134, s1, v109, v134, s1
	v_add_co_u32 v135, s1, v108, v135
	v_add_nc_u32_e32 v122, 0x120, v112
	v_add_co_ci_u32_e64 v136, s1, v109, v136, s1
	v_lshlrev_b64 v[141:142], 4, v[112:113]
	v_add_nc_u32_e32 v112, 0x240, v112
	v_add_co_u32 v137, s1, v108, v137
	v_add_co_ci_u32_e64 v138, s1, v109, v138, s1
	v_add_co_u32 v139, s1, v108, v139
	v_lshlrev_b64 v[121:122], 4, v[122:123]
	v_lshlrev_b64 v[143:144], 4, v[112:113]
	v_mad_u32_u24 v112, 0x360, v145, v146
	v_add_co_ci_u32_e64 v140, s1, v109, v140, s1
	v_add_co_u32 v141, s1, v108, v141
	v_add_co_ci_u32_e64 v142, s1, v109, v142, s1
	v_lshlrev_b64 v[145:146], 4, v[112:113]
	v_add_co_u32 v121, s1, v108, v121
	v_add_co_ci_u32_e64 v122, s1, v109, v122, s1
	v_add_co_u32 v143, s1, v108, v143
	v_add_co_ci_u32_e64 v144, s1, v109, v144, s1
	s_mov_b32 s2, 0xe8584caa
	s_mov_b32 s3, 0xbfebb67a
	;; [unrolled: 1-line block ×4, first 2 shown]
	v_mov_b32_e32 v124, v113
	v_add_nc_u32_e32 v123, 0x120, v112
	v_add_nc_u32_e32 v112, 0x240, v112
	;; [unrolled: 1-line block ×3, first 2 shown]
	v_lshlrev_b64 v[123:124], 4, v[123:124]
	v_lshlrev_b64 v[167:168], 4, v[112:113]
	v_cmp_gt_u32_e64 s0, 0x120, v106
	s_waitcnt vmcnt(9)
	v_mul_f64 v[147:148], v[20:21], v[58:59]
	s_waitcnt lgkmcnt(5)
	v_mul_f64 v[58:59], v[48:49], v[58:59]
	s_waitcnt vmcnt(8)
	v_mul_f64 v[149:150], v[26:27], v[62:63]
	s_waitcnt lgkmcnt(1)
	v_mul_f64 v[62:63], v[54:55], v[62:63]
	s_waitcnt vmcnt(7)
	v_mul_f64 v[151:152], v[22:23], v[74:75]
	v_mul_f64 v[74:75], v[50:51], v[74:75]
	s_waitcnt vmcnt(6)
	v_mul_f64 v[153:154], v[8:9], v[66:67]
	;; [unrolled: 3-line block ×3, first 2 shown]
	s_waitcnt vmcnt(4)
	v_mul_f64 v[157:158], v[18:19], v[78:79]
	s_waitcnt vmcnt(1)
	v_mul_f64 v[163:164], v[10:11], v[86:87]
	;; [unrolled: 2-line block ×3, first 2 shown]
	v_mul_f64 v[86:87], v[38:39], v[86:87]
	v_mul_f64 v[90:91], v[40:41], v[90:91]
	;; [unrolled: 1-line block ×8, first 2 shown]
	v_fma_f64 v[48:49], v[48:49], v[56:57], -v[147:148]
	v_fma_f64 v[20:21], v[20:21], v[56:57], v[58:59]
	v_fma_f64 v[54:55], v[54:55], v[60:61], -v[149:150]
	v_fma_f64 v[26:27], v[26:27], v[60:61], v[62:63]
	v_add_co_u32 v62, s1, v108, v145
	v_fma_f64 v[50:51], v[50:51], v[72:73], -v[151:152]
	v_fma_f64 v[22:23], v[22:23], v[72:73], v[74:75]
	v_fma_f64 v[36:37], v[36:37], v[64:65], -v[153:154]
	v_fma_f64 v[8:9], v[8:9], v[64:65], v[66:67]
	v_fma_f64 v[52:53], v[52:53], v[68:69], -v[155:156]
	v_fma_f64 v[46:47], v[46:47], v[76:77], -v[157:158]
	;; [unrolled: 1-line block ×4, first 2 shown]
	v_fma_f64 v[10:11], v[10:11], v[84:85], v[86:87]
	v_fma_f64 v[56:57], v[12:13], v[88:89], v[90:91]
	v_fma_f64 v[44:45], v[44:45], v[92:93], -v[159:160]
	v_fma_f64 v[42:43], v[42:43], v[80:81], -v[161:162]
	v_fma_f64 v[16:17], v[16:17], v[92:93], v[94:95]
	v_fma_f64 v[14:15], v[14:15], v[80:81], v[82:83]
	;; [unrolled: 1-line block ×4, first 2 shown]
	s_waitcnt lgkmcnt(0)
	v_add_f64 v[60:61], v[116:117], v[48:49]
	v_add_co_ci_u32_e64 v63, s1, v109, v146, s1
	v_add_f64 v[12:13], v[48:49], v[54:55]
	v_add_f64 v[64:65], v[48:49], -v[54:55]
	v_add_f64 v[48:49], v[20:21], v[26:27]
	v_add_f64 v[58:59], v[20:21], -v[26:27]
	v_add_f64 v[20:21], v[114:115], v[20:21]
	v_add_f64 v[66:67], v[36:37], v[50:51]
	;; [unrolled: 1-line block ×7, first 2 shown]
	v_add_f64 v[88:89], v[46:47], -v[52:53]
	v_add_f64 v[84:85], v[10:11], v[56:57]
	v_add_f64 v[74:75], v[36:37], -v[50:51]
	v_add_f64 v[78:79], v[44:45], v[42:43]
	v_add_f64 v[36:37], v[4:5], v[8:9]
	;; [unrolled: 1-line block ×3, first 2 shown]
	v_add_f64 v[68:69], v[8:9], -v[22:23]
	v_add_f64 v[90:91], v[18:19], v[24:25]
	v_add_f64 v[82:83], v[18:19], -v[24:25]
	v_add_f64 v[18:19], v[2:3], v[18:19]
	v_add_f64 v[92:93], v[32:33], v[44:45]
	v_add_f64 v[147:148], v[44:45], -v[42:43]
	v_add_f64 v[44:45], v[30:31], v[38:39]
	v_add_f64 v[149:150], v[6:7], v[10:11]
	v_add_f64 v[151:152], v[10:11], -v[56:57]
	v_add_f64 v[38:39], v[38:39], -v[40:41]
	v_fma_f64 v[66:67], v[66:67], -0.5, v[28:29]
	v_fma_f64 v[70:71], v[70:71], -0.5, v[4:5]
	v_add_f64 v[8:9], v[60:61], v[54:55]
	v_fma_f64 v[60:61], v[76:77], -0.5, v[34:35]
	v_add_f64 v[94:95], v[0:1], v[16:17]
	v_fma_f64 v[76:77], v[80:81], -0.5, v[30:31]
	v_add_f64 v[145:146], v[16:17], -v[14:15]
	v_fma_f64 v[80:81], v[84:85], -0.5, v[6:7]
	v_fma_f64 v[116:117], v[12:13], -0.5, v[116:117]
	;; [unrolled: 1-line block ×3, first 2 shown]
	v_add_f64 v[10:11], v[36:37], v[22:23]
	v_fma_f64 v[0:1], v[46:47], -0.5, v[0:1]
	v_fma_f64 v[78:79], v[48:49], -0.5, v[114:115]
	;; [unrolled: 1-line block ×3, first 2 shown]
	v_add_f64 v[12:13], v[72:73], v[50:51]
	v_add_f64 v[6:7], v[20:21], v[26:27]
	;; [unrolled: 1-line block ×7, first 2 shown]
	v_fma_f64 v[36:37], v[68:69], s[4:5], v[66:67]
	v_fma_f64 v[34:35], v[74:75], s[2:3], v[70:71]
	;; [unrolled: 1-line block ×4, first 2 shown]
	v_add_f64 v[14:15], v[94:95], v[14:15]
	v_fma_f64 v[52:53], v[151:152], s[4:5], v[76:77]
	v_fma_f64 v[48:49], v[151:152], s[2:3], v[76:77]
	;; [unrolled: 1-line block ×16, first 2 shown]
	v_add_co_u32 v0, s1, v108, v123
	v_add_co_ci_u32_e64 v1, s1, v109, v124, s1
	v_add_co_u32 v64, s1, v108, v167
	v_add_co_ci_u32_e64 v65, s1, v109, v168, s1
	global_store_dwordx4 v[125:126], v[10:13], off
	global_store_dwordx4 v[129:130], v[34:37], off offset:512
	global_store_dwordx4 v[131:132], v[30:33], off offset:1024
	global_store_dwordx4 v[127:128], v[18:21], off
	global_store_dwordx4 v[119:120], v[50:53], off
	;; [unrolled: 1-line block ×12, first 2 shown]
	s_and_b32 exec_lo, exec_lo, s0
	s_cbranch_execz .LBB0_34
; %bb.33:
	v_mov_b32_e32 v0, 0x10e
	v_mov_b32_e32 v107, v113
	v_cndmask_b32_e32 v0, 0xffffffee, v0, vcc_lo
	v_add_lshl_u32 v112, v118, v0, 1
	v_lshlrev_b64 v[0:1], 4, v[112:113]
	v_add_nc_u32_e32 v112, 0x22e, v118
	v_add_co_u32 v2, vcc_lo, s8, v0
	v_add_co_ci_u32_e32 v3, vcc_lo, s9, v1, vcc_lo
	v_add_co_u32 v0, vcc_lo, 0x1000, v2
	v_add_co_ci_u32_e32 v1, vcc_lo, 0, v3, vcc_lo
	;; [unrolled: 2-line block ×3, first 2 shown]
	s_clause 0x1
	global_load_dwordx4 v[0:3], v[0:1], off offset:464
	global_load_dwordx4 v[4:7], v[4:5], off offset:16
	s_waitcnt vmcnt(1)
	v_mul_f64 v[8:9], v[100:101], v[2:3]
	s_waitcnt vmcnt(0)
	v_mul_f64 v[10:11], v[102:103], v[6:7]
	v_mul_f64 v[2:3], v[96:97], v[2:3]
	;; [unrolled: 1-line block ×3, first 2 shown]
	v_fma_f64 v[8:9], v[96:97], v[0:1], v[8:9]
	v_fma_f64 v[10:11], v[98:99], v[4:5], v[10:11]
	v_fma_f64 v[0:1], v[100:101], v[0:1], -v[2:3]
	v_fma_f64 v[2:3], v[102:103], v[4:5], -v[6:7]
	v_add_f64 v[12:13], v[104:105], v[8:9]
	v_add_f64 v[4:5], v[8:9], v[10:11]
	;; [unrolled: 1-line block ×4, first 2 shown]
	v_add_f64 v[14:15], v[0:1], -v[2:3]
	v_add_f64 v[20:21], v[8:9], -v[10:11]
	v_add_f64 v[0:1], v[12:13], v[10:11]
	v_fma_f64 v[18:19], v[4:5], -0.5, v[104:105]
	v_add_f64 v[2:3], v[16:17], v[2:3]
	v_fma_f64 v[22:23], v[6:7], -0.5, v[110:111]
	v_lshlrev_b64 v[12:13], 4, v[106:107]
	v_add_co_u32 v12, vcc_lo, v108, v12
	v_add_co_ci_u32_e32 v13, vcc_lo, v109, v13, vcc_lo
	v_fma_f64 v[4:5], v[14:15], s[2:3], v[18:19]
	v_fma_f64 v[8:9], v[14:15], s[4:5], v[18:19]
	;; [unrolled: 1-line block ×4, first 2 shown]
	v_lshlrev_b64 v[14:15], 4, v[112:113]
	v_add_nc_u32_e32 v112, 0x34e, v118
	v_lshlrev_b64 v[16:17], 4, v[112:113]
	v_add_co_u32 v14, vcc_lo, v108, v14
	v_add_co_ci_u32_e32 v15, vcc_lo, v109, v15, vcc_lo
	v_add_co_u32 v16, vcc_lo, v108, v16
	v_add_co_ci_u32_e32 v17, vcc_lo, v109, v17, vcc_lo
	global_store_dwordx4 v[12:13], v[0:3], off
	global_store_dwordx4 v[14:15], v[4:7], off
	;; [unrolled: 1-line block ×3, first 2 shown]
.LBB0_34:
	s_endpgm
	.section	.rodata,"a",@progbits
	.p2align	6, 0x0
	.amdhsa_kernel fft_rtc_back_len864_factors_3_6_16_3_wgs_54_tpt_54_halfLds_dp_op_CI_CI_unitstride_sbrr_dirReg
		.amdhsa_group_segment_fixed_size 0
		.amdhsa_private_segment_fixed_size 0
		.amdhsa_kernarg_size 104
		.amdhsa_user_sgpr_count 6
		.amdhsa_user_sgpr_private_segment_buffer 1
		.amdhsa_user_sgpr_dispatch_ptr 0
		.amdhsa_user_sgpr_queue_ptr 0
		.amdhsa_user_sgpr_kernarg_segment_ptr 1
		.amdhsa_user_sgpr_dispatch_id 0
		.amdhsa_user_sgpr_flat_scratch_init 0
		.amdhsa_user_sgpr_private_segment_size 0
		.amdhsa_wavefront_size32 1
		.amdhsa_uses_dynamic_stack 0
		.amdhsa_system_sgpr_private_segment_wavefront_offset 0
		.amdhsa_system_sgpr_workgroup_id_x 1
		.amdhsa_system_sgpr_workgroup_id_y 0
		.amdhsa_system_sgpr_workgroup_id_z 0
		.amdhsa_system_sgpr_workgroup_info 0
		.amdhsa_system_vgpr_workitem_id 0
		.amdhsa_next_free_vgpr 171
		.amdhsa_next_free_sgpr 27
		.amdhsa_reserve_vcc 1
		.amdhsa_reserve_flat_scratch 0
		.amdhsa_float_round_mode_32 0
		.amdhsa_float_round_mode_16_64 0
		.amdhsa_float_denorm_mode_32 3
		.amdhsa_float_denorm_mode_16_64 3
		.amdhsa_dx10_clamp 1
		.amdhsa_ieee_mode 1
		.amdhsa_fp16_overflow 0
		.amdhsa_workgroup_processor_mode 1
		.amdhsa_memory_ordered 1
		.amdhsa_forward_progress 0
		.amdhsa_shared_vgpr_count 0
		.amdhsa_exception_fp_ieee_invalid_op 0
		.amdhsa_exception_fp_denorm_src 0
		.amdhsa_exception_fp_ieee_div_zero 0
		.amdhsa_exception_fp_ieee_overflow 0
		.amdhsa_exception_fp_ieee_underflow 0
		.amdhsa_exception_fp_ieee_inexact 0
		.amdhsa_exception_int_div_zero 0
	.end_amdhsa_kernel
	.text
.Lfunc_end0:
	.size	fft_rtc_back_len864_factors_3_6_16_3_wgs_54_tpt_54_halfLds_dp_op_CI_CI_unitstride_sbrr_dirReg, .Lfunc_end0-fft_rtc_back_len864_factors_3_6_16_3_wgs_54_tpt_54_halfLds_dp_op_CI_CI_unitstride_sbrr_dirReg
                                        ; -- End function
	.section	.AMDGPU.csdata,"",@progbits
; Kernel info:
; codeLenInByte = 10524
; NumSgprs: 29
; NumVgprs: 171
; ScratchSize: 0
; MemoryBound: 1
; FloatMode: 240
; IeeeMode: 1
; LDSByteSize: 0 bytes/workgroup (compile time only)
; SGPRBlocks: 3
; VGPRBlocks: 21
; NumSGPRsForWavesPerEU: 29
; NumVGPRsForWavesPerEU: 171
; Occupancy: 5
; WaveLimiterHint : 1
; COMPUTE_PGM_RSRC2:SCRATCH_EN: 0
; COMPUTE_PGM_RSRC2:USER_SGPR: 6
; COMPUTE_PGM_RSRC2:TRAP_HANDLER: 0
; COMPUTE_PGM_RSRC2:TGID_X_EN: 1
; COMPUTE_PGM_RSRC2:TGID_Y_EN: 0
; COMPUTE_PGM_RSRC2:TGID_Z_EN: 0
; COMPUTE_PGM_RSRC2:TIDIG_COMP_CNT: 0
	.text
	.p2alignl 6, 3214868480
	.fill 48, 4, 3214868480
	.type	__hip_cuid_bd0ffbb6db898914,@object ; @__hip_cuid_bd0ffbb6db898914
	.section	.bss,"aw",@nobits
	.globl	__hip_cuid_bd0ffbb6db898914
__hip_cuid_bd0ffbb6db898914:
	.byte	0                               ; 0x0
	.size	__hip_cuid_bd0ffbb6db898914, 1

	.ident	"AMD clang version 19.0.0git (https://github.com/RadeonOpenCompute/llvm-project roc-6.4.0 25133 c7fe45cf4b819c5991fe208aaa96edf142730f1d)"
	.section	".note.GNU-stack","",@progbits
	.addrsig
	.addrsig_sym __hip_cuid_bd0ffbb6db898914
	.amdgpu_metadata
---
amdhsa.kernels:
  - .args:
      - .actual_access:  read_only
        .address_space:  global
        .offset:         0
        .size:           8
        .value_kind:     global_buffer
      - .offset:         8
        .size:           8
        .value_kind:     by_value
      - .actual_access:  read_only
        .address_space:  global
        .offset:         16
        .size:           8
        .value_kind:     global_buffer
      - .actual_access:  read_only
        .address_space:  global
        .offset:         24
        .size:           8
        .value_kind:     global_buffer
      - .actual_access:  read_only
        .address_space:  global
        .offset:         32
        .size:           8
        .value_kind:     global_buffer
      - .offset:         40
        .size:           8
        .value_kind:     by_value
      - .actual_access:  read_only
        .address_space:  global
        .offset:         48
        .size:           8
        .value_kind:     global_buffer
      - .actual_access:  read_only
        .address_space:  global
        .offset:         56
        .size:           8
        .value_kind:     global_buffer
      - .offset:         64
        .size:           4
        .value_kind:     by_value
      - .actual_access:  read_only
        .address_space:  global
        .offset:         72
        .size:           8
        .value_kind:     global_buffer
      - .actual_access:  read_only
        .address_space:  global
        .offset:         80
        .size:           8
        .value_kind:     global_buffer
      - .actual_access:  read_only
        .address_space:  global
        .offset:         88
        .size:           8
        .value_kind:     global_buffer
      - .actual_access:  write_only
        .address_space:  global
        .offset:         96
        .size:           8
        .value_kind:     global_buffer
    .group_segment_fixed_size: 0
    .kernarg_segment_align: 8
    .kernarg_segment_size: 104
    .language:       OpenCL C
    .language_version:
      - 2
      - 0
    .max_flat_workgroup_size: 54
    .name:           fft_rtc_back_len864_factors_3_6_16_3_wgs_54_tpt_54_halfLds_dp_op_CI_CI_unitstride_sbrr_dirReg
    .private_segment_fixed_size: 0
    .sgpr_count:     29
    .sgpr_spill_count: 0
    .symbol:         fft_rtc_back_len864_factors_3_6_16_3_wgs_54_tpt_54_halfLds_dp_op_CI_CI_unitstride_sbrr_dirReg.kd
    .uniform_work_group_size: 1
    .uses_dynamic_stack: false
    .vgpr_count:     171
    .vgpr_spill_count: 0
    .wavefront_size: 32
    .workgroup_processor_mode: 1
amdhsa.target:   amdgcn-amd-amdhsa--gfx1030
amdhsa.version:
  - 1
  - 2
...

	.end_amdgpu_metadata
